;; amdgpu-corpus repo=ROCm/hip-tests kind=compiled arch=gfx1250 opt=O3
	.amdgcn_target "amdgcn-amd-amdhsa--gfx1250"
	.amdhsa_code_object_version 6
	.text
	.protected	_Z10HIP_kernelPjS_S_S_S_PyS0_S0_S_S_ ; -- Begin function _Z10HIP_kernelPjS_S_S_S_PyS0_S0_S_S_
	.globl	_Z10HIP_kernelPjS_S_S_S_PyS0_S0_S_S_
	.p2align	8
	.type	_Z10HIP_kernelPjS_S_S_S_PyS0_S0_S_S_,@function
_Z10HIP_kernelPjS_S_S_S_PyS0_S0_S_S_:   ; @_Z10HIP_kernelPjS_S_S_S_PyS0_S0_S_S_
; %bb.0:
	s_load_b32 s2, s[0:1], 0x5c
	s_bfe_u32 s3, ttmp6, 0x4000c
	s_load_b512 s[4:19], s[0:1], 0x0
	s_add_co_i32 s3, s3, 1
	s_and_b32 s20, ttmp6, 15
	s_mul_i32 s3, ttmp9, s3
	s_getreg_b32 s21, hwreg(HW_REG_IB_STS2, 6, 4)
	s_add_co_i32 s20, s20, s3
	s_wait_kmcnt 0x0
	s_and_b32 s2, s2, 0xffff
	s_cmp_eq_u32 s21, 0
	s_cselect_b32 s3, ttmp9, s20
	s_delay_alu instid0(SALU_CYCLE_1)
	v_mad_u32 v8, s3, s2, v0
	s_load_b128 s[0:3], s[0:1], 0x40
	s_clause 0x4
	global_load_b32 v2, v8, s[12:13] scale_offset
	global_load_b32 v3, v8, s[8:9] scale_offset
	;; [unrolled: 1-line block ×4, first 2 shown]
	global_load_b64 v[0:1], v8, s[16:17] scale_offset
	s_wait_loadcnt 0x4
	v_lshlrev_b32_e64 v2, v2, -1
	s_delay_alu instid0(VALU_DEP_1) | instskip(SKIP_3) | instid1(VALU_DEP_2)
	v_not_b32_e32 v6, v2
	s_wait_loadcnt 0x3
	v_bitop3_b32 v2, v3, v2, v3 bitop3:0x30
	s_wait_loadcnt 0x2
	v_lshlrev_b32_e32 v3, v4, v6
	s_delay_alu instid0(VALU_DEP_2) | instskip(SKIP_1) | instid1(VALU_DEP_1)
	v_lshlrev_b32_e32 v2, v4, v2
	s_wait_loadcnt 0x1
	v_bitop3_b32 v2, v5, v2, v3 bitop3:0xdc
	global_store_b32 v8, v2, s[4:5] scale_offset
	s_wait_kmcnt 0x0
	s_clause 0x2
	global_load_b32 v4, v8, s[2:3] scale_offset
	global_load_b32 v9, v8, s[0:1] scale_offset
	global_load_b64 v[2:3], v8, s[18:19] scale_offset
	s_wait_loadcnt 0x2
	v_lshlrev_b64_e64 v[4:5], v4, -1
	s_delay_alu instid0(VALU_DEP_1) | instskip(NEXT) | instid1(VALU_DEP_2)
	v_not_b32_e32 v5, v5
	v_not_b32_e32 v4, v4
	s_wait_loadcnt 0x0
	s_delay_alu instid0(VALU_DEP_2) | instskip(NEXT) | instid1(VALU_DEP_2)
	v_and_b32_e32 v3, v3, v5
	v_lshlrev_b64_e32 v[6:7], v9, v[4:5]
	v_and_b32_e32 v2, v2, v4
	s_delay_alu instid0(VALU_DEP_1) | instskip(NEXT) | instid1(VALU_DEP_3)
	v_lshlrev_b64_e32 v[2:3], v9, v[2:3]
	v_bfi_b32 v1, v7, 0, v1
	s_delay_alu instid0(VALU_DEP_4) | instskip(NEXT) | instid1(VALU_DEP_2)
	v_bfi_b32 v0, v6, 0, v0
	v_or_b32_e32 v1, v1, v3
	s_delay_alu instid0(VALU_DEP_2)
	v_or_b32_e32 v0, v0, v2
	global_store_b64 v8, v[0:1], s[14:15] scale_offset
	s_endpgm
	.section	.rodata,"a",@progbits
	.p2align	6, 0x0
	.amdhsa_kernel _Z10HIP_kernelPjS_S_S_S_PyS0_S0_S_S_
		.amdhsa_group_segment_fixed_size 0
		.amdhsa_private_segment_fixed_size 0
		.amdhsa_kernarg_size 336
		.amdhsa_user_sgpr_count 2
		.amdhsa_user_sgpr_dispatch_ptr 0
		.amdhsa_user_sgpr_queue_ptr 0
		.amdhsa_user_sgpr_kernarg_segment_ptr 1
		.amdhsa_user_sgpr_dispatch_id 0
		.amdhsa_user_sgpr_kernarg_preload_length 0
		.amdhsa_user_sgpr_kernarg_preload_offset 0
		.amdhsa_user_sgpr_private_segment_size 0
		.amdhsa_wavefront_size32 1
		.amdhsa_uses_dynamic_stack 0
		.amdhsa_enable_private_segment 0
		.amdhsa_system_sgpr_workgroup_id_x 1
		.amdhsa_system_sgpr_workgroup_id_y 0
		.amdhsa_system_sgpr_workgroup_id_z 0
		.amdhsa_system_sgpr_workgroup_info 0
		.amdhsa_system_vgpr_workitem_id 0
		.amdhsa_next_free_vgpr 10
		.amdhsa_next_free_sgpr 22
		.amdhsa_named_barrier_count 0
		.amdhsa_reserve_vcc 0
		.amdhsa_float_round_mode_32 0
		.amdhsa_float_round_mode_16_64 0
		.amdhsa_float_denorm_mode_32 3
		.amdhsa_float_denorm_mode_16_64 3
		.amdhsa_fp16_overflow 0
		.amdhsa_memory_ordered 1
		.amdhsa_forward_progress 1
		.amdhsa_inst_pref_size 3
		.amdhsa_round_robin_scheduling 0
		.amdhsa_exception_fp_ieee_invalid_op 0
		.amdhsa_exception_fp_denorm_src 0
		.amdhsa_exception_fp_ieee_div_zero 0
		.amdhsa_exception_fp_ieee_overflow 0
		.amdhsa_exception_fp_ieee_underflow 0
		.amdhsa_exception_fp_ieee_inexact 0
		.amdhsa_exception_int_div_zero 0
	.end_amdhsa_kernel
	.text
.Lfunc_end0:
	.size	_Z10HIP_kernelPjS_S_S_S_PyS0_S0_S_S_, .Lfunc_end0-_Z10HIP_kernelPjS_S_S_S_PyS0_S0_S_S_
                                        ; -- End function
	.set _Z10HIP_kernelPjS_S_S_S_PyS0_S0_S_S_.num_vgpr, 10
	.set _Z10HIP_kernelPjS_S_S_S_PyS0_S0_S_S_.num_agpr, 0
	.set _Z10HIP_kernelPjS_S_S_S_PyS0_S0_S_S_.numbered_sgpr, 22
	.set _Z10HIP_kernelPjS_S_S_S_PyS0_S0_S_S_.num_named_barrier, 0
	.set _Z10HIP_kernelPjS_S_S_S_PyS0_S0_S_S_.private_seg_size, 0
	.set _Z10HIP_kernelPjS_S_S_S_PyS0_S0_S_S_.uses_vcc, 0
	.set _Z10HIP_kernelPjS_S_S_S_PyS0_S0_S_S_.uses_flat_scratch, 0
	.set _Z10HIP_kernelPjS_S_S_S_PyS0_S0_S_S_.has_dyn_sized_stack, 0
	.set _Z10HIP_kernelPjS_S_S_S_PyS0_S0_S_S_.has_recursion, 0
	.set _Z10HIP_kernelPjS_S_S_S_PyS0_S0_S_S_.has_indirect_call, 0
	.section	.AMDGPU.csdata,"",@progbits
; Kernel info:
; codeLenInByte = 364
; TotalNumSgprs: 22
; NumVgprs: 10
; ScratchSize: 0
; MemoryBound: 0
; FloatMode: 240
; IeeeMode: 1
; LDSByteSize: 0 bytes/workgroup (compile time only)
; SGPRBlocks: 0
; VGPRBlocks: 0
; NumSGPRsForWavesPerEU: 22
; NumVGPRsForWavesPerEU: 10
; NamedBarCnt: 0
; Occupancy: 16
; WaveLimiterHint : 0
; COMPUTE_PGM_RSRC2:SCRATCH_EN: 0
; COMPUTE_PGM_RSRC2:USER_SGPR: 2
; COMPUTE_PGM_RSRC2:TRAP_HANDLER: 0
; COMPUTE_PGM_RSRC2:TGID_X_EN: 1
; COMPUTE_PGM_RSRC2:TGID_Y_EN: 0
; COMPUTE_PGM_RSRC2:TGID_Z_EN: 0
; COMPUTE_PGM_RSRC2:TIDIG_COMP_CNT: 0
	.text
	.p2alignl 7, 3214868480
	.fill 96, 4, 3214868480
	.section	.AMDGPU.gpr_maximums,"",@progbits
	.set amdgpu.max_num_vgpr, 0
	.set amdgpu.max_num_agpr, 0
	.set amdgpu.max_num_sgpr, 0
	.text
	.type	__hip_cuid_9cf91b69bee31c30,@object ; @__hip_cuid_9cf91b69bee31c30
	.section	.bss,"aw",@nobits
	.globl	__hip_cuid_9cf91b69bee31c30
__hip_cuid_9cf91b69bee31c30:
	.byte	0                               ; 0x0
	.size	__hip_cuid_9cf91b69bee31c30, 1

	.ident	"AMD clang version 22.0.0git (https://github.com/RadeonOpenCompute/llvm-project roc-7.2.4 26084 f58b06dce1f9c15707c5f808fd002e18c2accf7e)"
	.section	".note.GNU-stack","",@progbits
	.addrsig
	.addrsig_sym __hip_cuid_9cf91b69bee31c30
	.amdgpu_metadata
---
amdhsa.kernels:
  - .args:
      - .address_space:  global
        .offset:         0
        .size:           8
        .value_kind:     global_buffer
      - .address_space:  global
        .offset:         8
        .size:           8
        .value_kind:     global_buffer
      - .address_space:  global
        .offset:         16
        .size:           8
        .value_kind:     global_buffer
      - .address_space:  global
        .offset:         24
        .size:           8
        .value_kind:     global_buffer
      - .address_space:  global
        .offset:         32
        .size:           8
        .value_kind:     global_buffer
      - .address_space:  global
        .offset:         40
        .size:           8
        .value_kind:     global_buffer
      - .address_space:  global
        .offset:         48
        .size:           8
        .value_kind:     global_buffer
      - .address_space:  global
        .offset:         56
        .size:           8
        .value_kind:     global_buffer
      - .address_space:  global
        .offset:         64
        .size:           8
        .value_kind:     global_buffer
      - .address_space:  global
        .offset:         72
        .size:           8
        .value_kind:     global_buffer
      - .offset:         80
        .size:           4
        .value_kind:     hidden_block_count_x
      - .offset:         84
        .size:           4
        .value_kind:     hidden_block_count_y
      - .offset:         88
        .size:           4
        .value_kind:     hidden_block_count_z
      - .offset:         92
        .size:           2
        .value_kind:     hidden_group_size_x
      - .offset:         94
        .size:           2
        .value_kind:     hidden_group_size_y
      - .offset:         96
        .size:           2
        .value_kind:     hidden_group_size_z
      - .offset:         98
        .size:           2
        .value_kind:     hidden_remainder_x
      - .offset:         100
        .size:           2
        .value_kind:     hidden_remainder_y
      - .offset:         102
        .size:           2
        .value_kind:     hidden_remainder_z
      - .offset:         120
        .size:           8
        .value_kind:     hidden_global_offset_x
      - .offset:         128
        .size:           8
        .value_kind:     hidden_global_offset_y
      - .offset:         136
        .size:           8
        .value_kind:     hidden_global_offset_z
      - .offset:         144
        .size:           2
        .value_kind:     hidden_grid_dims
    .group_segment_fixed_size: 0
    .kernarg_segment_align: 8
    .kernarg_segment_size: 336
    .language:       OpenCL C
    .language_version:
      - 2
      - 0
    .max_flat_workgroup_size: 1024
    .name:           _Z10HIP_kernelPjS_S_S_S_PyS0_S0_S_S_
    .private_segment_fixed_size: 0
    .sgpr_count:     22
    .sgpr_spill_count: 0
    .symbol:         _Z10HIP_kernelPjS_S_S_S_PyS0_S0_S_S_.kd
    .uniform_work_group_size: 1
    .uses_dynamic_stack: false
    .vgpr_count:     10
    .vgpr_spill_count: 0
    .wavefront_size: 32
amdhsa.target:   amdgcn-amd-amdhsa--gfx1250
amdhsa.version:
  - 1
  - 2
...

	.end_amdgpu_metadata
